;; amdgpu-corpus repo=ROCm/rocFFT kind=compiled arch=gfx1201 opt=O3
	.text
	.amdgcn_target "amdgcn-amd-amdhsa--gfx1201"
	.amdhsa_code_object_version 6
	.protected	fft_rtc_back_len1848_factors_3_11_7_4_2_wgs_231_tpt_231_halfLds_half_op_CI_CI_unitstride_sbrr_C2R_dirReg ; -- Begin function fft_rtc_back_len1848_factors_3_11_7_4_2_wgs_231_tpt_231_halfLds_half_op_CI_CI_unitstride_sbrr_C2R_dirReg
	.globl	fft_rtc_back_len1848_factors_3_11_7_4_2_wgs_231_tpt_231_halfLds_half_op_CI_CI_unitstride_sbrr_C2R_dirReg
	.p2align	8
	.type	fft_rtc_back_len1848_factors_3_11_7_4_2_wgs_231_tpt_231_halfLds_half_op_CI_CI_unitstride_sbrr_C2R_dirReg,@function
fft_rtc_back_len1848_factors_3_11_7_4_2_wgs_231_tpt_231_halfLds_half_op_CI_CI_unitstride_sbrr_C2R_dirReg: ; @fft_rtc_back_len1848_factors_3_11_7_4_2_wgs_231_tpt_231_halfLds_half_op_CI_CI_unitstride_sbrr_C2R_dirReg
; %bb.0:
	s_clause 0x2
	s_load_b128 s[8:11], s[0:1], 0x0
	s_load_b128 s[4:7], s[0:1], 0x58
	;; [unrolled: 1-line block ×3, first 2 shown]
	v_mul_u32_u24_e32 v1, 0x11c, v0
	v_mov_b32_e32 v8, 0
	v_mov_b32_e32 v6, 0
	;; [unrolled: 1-line block ×3, first 2 shown]
	s_delay_alu instid0(VALU_DEP_4) | instskip(NEXT) | instid1(VALU_DEP_1)
	v_lshrrev_b32_e32 v1, 16, v1
	v_dual_mov_b32 v11, v8 :: v_dual_add_nc_u32 v10, ttmp9, v1
	s_wait_kmcnt 0x0
	v_cmp_lt_u64_e64 s2, s[10:11], 2
	s_delay_alu instid0(VALU_DEP_1)
	s_and_b32 vcc_lo, exec_lo, s2
	s_cbranch_vccnz .LBB0_8
; %bb.1:
	s_load_b64 s[2:3], s[0:1], 0x10
	v_mov_b32_e32 v6, 0
	v_mov_b32_e32 v7, 0
	s_delay_alu instid0(VALU_DEP_2)
	v_mov_b32_e32 v1, v6
	s_add_nc_u64 s[16:17], s[14:15], 8
	s_add_nc_u64 s[18:19], s[12:13], 8
	s_mov_b64 s[20:21], 1
	v_mov_b32_e32 v2, v7
	s_wait_kmcnt 0x0
	s_add_nc_u64 s[22:23], s[2:3], 8
	s_mov_b32 s3, 0
.LBB0_2:                                ; =>This Inner Loop Header: Depth=1
	s_load_b64 s[24:25], s[22:23], 0x0
                                        ; implicit-def: $vgpr3_vgpr4
	s_mov_b32 s2, exec_lo
	s_wait_kmcnt 0x0
	v_or_b32_e32 v9, s25, v11
	s_delay_alu instid0(VALU_DEP_1)
	v_cmpx_ne_u64_e32 0, v[8:9]
	s_wait_alu 0xfffe
	s_xor_b32 s26, exec_lo, s2
	s_cbranch_execz .LBB0_4
; %bb.3:                                ;   in Loop: Header=BB0_2 Depth=1
	s_cvt_f32_u32 s2, s24
	s_cvt_f32_u32 s27, s25
	s_sub_nc_u64 s[30:31], 0, s[24:25]
	s_wait_alu 0xfffe
	s_delay_alu instid0(SALU_CYCLE_1) | instskip(SKIP_1) | instid1(SALU_CYCLE_2)
	s_fmamk_f32 s2, s27, 0x4f800000, s2
	s_wait_alu 0xfffe
	v_s_rcp_f32 s2, s2
	s_delay_alu instid0(TRANS32_DEP_1) | instskip(SKIP_1) | instid1(SALU_CYCLE_2)
	s_mul_f32 s2, s2, 0x5f7ffffc
	s_wait_alu 0xfffe
	s_mul_f32 s27, s2, 0x2f800000
	s_wait_alu 0xfffe
	s_delay_alu instid0(SALU_CYCLE_2) | instskip(SKIP_1) | instid1(SALU_CYCLE_2)
	s_trunc_f32 s27, s27
	s_wait_alu 0xfffe
	s_fmamk_f32 s2, s27, 0xcf800000, s2
	s_cvt_u32_f32 s29, s27
	s_wait_alu 0xfffe
	s_delay_alu instid0(SALU_CYCLE_1) | instskip(SKIP_1) | instid1(SALU_CYCLE_2)
	s_cvt_u32_f32 s28, s2
	s_wait_alu 0xfffe
	s_mul_u64 s[34:35], s[30:31], s[28:29]
	s_wait_alu 0xfffe
	s_mul_hi_u32 s37, s28, s35
	s_mul_i32 s36, s28, s35
	s_mul_hi_u32 s2, s28, s34
	s_mul_i32 s33, s29, s34
	s_wait_alu 0xfffe
	s_add_nc_u64 s[36:37], s[2:3], s[36:37]
	s_mul_hi_u32 s27, s29, s34
	s_mul_hi_u32 s38, s29, s35
	s_add_co_u32 s2, s36, s33
	s_wait_alu 0xfffe
	s_add_co_ci_u32 s2, s37, s27
	s_mul_i32 s34, s29, s35
	s_add_co_ci_u32 s35, s38, 0
	s_wait_alu 0xfffe
	s_add_nc_u64 s[34:35], s[2:3], s[34:35]
	s_wait_alu 0xfffe
	v_add_co_u32 v3, s2, s28, s34
	s_delay_alu instid0(VALU_DEP_1) | instskip(SKIP_1) | instid1(VALU_DEP_1)
	s_cmp_lg_u32 s2, 0
	s_add_co_ci_u32 s29, s29, s35
	v_readfirstlane_b32 s28, v3
	s_wait_alu 0xfffe
	s_delay_alu instid0(VALU_DEP_1)
	s_mul_u64 s[30:31], s[30:31], s[28:29]
	s_wait_alu 0xfffe
	s_mul_hi_u32 s35, s28, s31
	s_mul_i32 s34, s28, s31
	s_mul_hi_u32 s2, s28, s30
	s_mul_i32 s33, s29, s30
	s_wait_alu 0xfffe
	s_add_nc_u64 s[34:35], s[2:3], s[34:35]
	s_mul_hi_u32 s27, s29, s30
	s_mul_hi_u32 s28, s29, s31
	s_wait_alu 0xfffe
	s_add_co_u32 s2, s34, s33
	s_add_co_ci_u32 s2, s35, s27
	s_mul_i32 s30, s29, s31
	s_add_co_ci_u32 s31, s28, 0
	s_wait_alu 0xfffe
	s_add_nc_u64 s[30:31], s[2:3], s[30:31]
	s_wait_alu 0xfffe
	v_add_co_u32 v5, s2, v3, s30
	s_delay_alu instid0(VALU_DEP_1) | instskip(SKIP_1) | instid1(VALU_DEP_1)
	s_cmp_lg_u32 s2, 0
	s_add_co_ci_u32 s2, s29, s31
	v_mul_hi_u32 v9, v10, v5
	s_wait_alu 0xfffe
	v_mad_co_u64_u32 v[3:4], null, v10, s2, 0
	v_mad_co_u64_u32 v[12:13], null, v11, v5, 0
	;; [unrolled: 1-line block ×3, first 2 shown]
	s_delay_alu instid0(VALU_DEP_3) | instskip(SKIP_1) | instid1(VALU_DEP_4)
	v_add_co_u32 v3, vcc_lo, v9, v3
	s_wait_alu 0xfffd
	v_add_co_ci_u32_e32 v4, vcc_lo, 0, v4, vcc_lo
	s_delay_alu instid0(VALU_DEP_2) | instskip(SKIP_1) | instid1(VALU_DEP_2)
	v_add_co_u32 v3, vcc_lo, v3, v12
	s_wait_alu 0xfffd
	v_add_co_ci_u32_e32 v3, vcc_lo, v4, v13, vcc_lo
	s_wait_alu 0xfffd
	v_add_co_ci_u32_e32 v4, vcc_lo, 0, v15, vcc_lo
	s_delay_alu instid0(VALU_DEP_2) | instskip(SKIP_1) | instid1(VALU_DEP_2)
	v_add_co_u32 v5, vcc_lo, v3, v14
	s_wait_alu 0xfffd
	v_add_co_ci_u32_e32 v9, vcc_lo, 0, v4, vcc_lo
	s_delay_alu instid0(VALU_DEP_2) | instskip(SKIP_1) | instid1(VALU_DEP_3)
	v_mul_lo_u32 v12, s25, v5
	v_mad_co_u64_u32 v[3:4], null, s24, v5, 0
	v_mul_lo_u32 v13, s24, v9
	s_delay_alu instid0(VALU_DEP_2) | instskip(NEXT) | instid1(VALU_DEP_2)
	v_sub_co_u32 v3, vcc_lo, v10, v3
	v_add3_u32 v4, v4, v13, v12
	s_delay_alu instid0(VALU_DEP_1) | instskip(SKIP_1) | instid1(VALU_DEP_1)
	v_sub_nc_u32_e32 v12, v11, v4
	s_wait_alu 0xfffd
	v_subrev_co_ci_u32_e64 v12, s2, s25, v12, vcc_lo
	v_add_co_u32 v13, s2, v5, 2
	s_wait_alu 0xf1ff
	v_add_co_ci_u32_e64 v14, s2, 0, v9, s2
	v_sub_co_u32 v15, s2, v3, s24
	v_sub_co_ci_u32_e32 v4, vcc_lo, v11, v4, vcc_lo
	s_wait_alu 0xf1ff
	v_subrev_co_ci_u32_e64 v12, s2, 0, v12, s2
	s_delay_alu instid0(VALU_DEP_3) | instskip(NEXT) | instid1(VALU_DEP_3)
	v_cmp_le_u32_e32 vcc_lo, s24, v15
	v_cmp_eq_u32_e64 s2, s25, v4
	s_wait_alu 0xfffd
	v_cndmask_b32_e64 v15, 0, -1, vcc_lo
	v_cmp_le_u32_e32 vcc_lo, s25, v12
	s_wait_alu 0xfffd
	v_cndmask_b32_e64 v16, 0, -1, vcc_lo
	v_cmp_le_u32_e32 vcc_lo, s24, v3
	;; [unrolled: 3-line block ×3, first 2 shown]
	s_wait_alu 0xfffd
	v_cndmask_b32_e64 v17, 0, -1, vcc_lo
	v_cmp_eq_u32_e32 vcc_lo, s25, v12
	s_wait_alu 0xf1ff
	s_delay_alu instid0(VALU_DEP_2)
	v_cndmask_b32_e64 v3, v17, v3, s2
	s_wait_alu 0xfffd
	v_cndmask_b32_e32 v12, v16, v15, vcc_lo
	v_add_co_u32 v15, vcc_lo, v5, 1
	s_wait_alu 0xfffd
	v_add_co_ci_u32_e32 v16, vcc_lo, 0, v9, vcc_lo
	s_delay_alu instid0(VALU_DEP_3) | instskip(SKIP_2) | instid1(VALU_DEP_3)
	v_cmp_ne_u32_e32 vcc_lo, 0, v12
	s_wait_alu 0xfffd
	v_cndmask_b32_e32 v12, v15, v13, vcc_lo
	v_cndmask_b32_e32 v4, v16, v14, vcc_lo
	v_cmp_ne_u32_e32 vcc_lo, 0, v3
	s_wait_alu 0xfffd
	s_delay_alu instid0(VALU_DEP_3) | instskip(NEXT) | instid1(VALU_DEP_3)
	v_cndmask_b32_e32 v3, v5, v12, vcc_lo
	v_cndmask_b32_e32 v4, v9, v4, vcc_lo
.LBB0_4:                                ;   in Loop: Header=BB0_2 Depth=1
	s_wait_alu 0xfffe
	s_and_not1_saveexec_b32 s2, s26
	s_cbranch_execz .LBB0_6
; %bb.5:                                ;   in Loop: Header=BB0_2 Depth=1
	v_cvt_f32_u32_e32 v3, s24
	s_sub_co_i32 s26, 0, s24
	s_delay_alu instid0(VALU_DEP_1) | instskip(NEXT) | instid1(TRANS32_DEP_1)
	v_rcp_iflag_f32_e32 v3, v3
	v_mul_f32_e32 v3, 0x4f7ffffe, v3
	s_delay_alu instid0(VALU_DEP_1) | instskip(SKIP_1) | instid1(VALU_DEP_1)
	v_cvt_u32_f32_e32 v3, v3
	s_wait_alu 0xfffe
	v_mul_lo_u32 v4, s26, v3
	s_delay_alu instid0(VALU_DEP_1) | instskip(NEXT) | instid1(VALU_DEP_1)
	v_mul_hi_u32 v4, v3, v4
	v_add_nc_u32_e32 v3, v3, v4
	s_delay_alu instid0(VALU_DEP_1) | instskip(NEXT) | instid1(VALU_DEP_1)
	v_mul_hi_u32 v3, v10, v3
	v_mul_lo_u32 v4, v3, s24
	v_add_nc_u32_e32 v5, 1, v3
	s_delay_alu instid0(VALU_DEP_2) | instskip(NEXT) | instid1(VALU_DEP_1)
	v_sub_nc_u32_e32 v4, v10, v4
	v_subrev_nc_u32_e32 v9, s24, v4
	v_cmp_le_u32_e32 vcc_lo, s24, v4
	s_wait_alu 0xfffd
	s_delay_alu instid0(VALU_DEP_2) | instskip(SKIP_1) | instid1(VALU_DEP_2)
	v_cndmask_b32_e32 v4, v4, v9, vcc_lo
	v_cndmask_b32_e32 v3, v3, v5, vcc_lo
	v_cmp_le_u32_e32 vcc_lo, s24, v4
	s_delay_alu instid0(VALU_DEP_2) | instskip(SKIP_1) | instid1(VALU_DEP_1)
	v_dual_mov_b32 v4, v8 :: v_dual_add_nc_u32 v5, 1, v3
	s_wait_alu 0xfffd
	v_cndmask_b32_e32 v3, v3, v5, vcc_lo
.LBB0_6:                                ;   in Loop: Header=BB0_2 Depth=1
	s_wait_alu 0xfffe
	s_or_b32 exec_lo, exec_lo, s2
	v_mul_lo_u32 v5, v4, s24
	s_delay_alu instid0(VALU_DEP_2)
	v_mul_lo_u32 v9, v3, s25
	s_load_b64 s[26:27], s[18:19], 0x0
	v_mad_co_u64_u32 v[12:13], null, v3, s24, 0
	s_load_b64 s[24:25], s[16:17], 0x0
	s_add_nc_u64 s[20:21], s[20:21], 1
	s_add_nc_u64 s[16:17], s[16:17], 8
	s_wait_alu 0xfffe
	v_cmp_ge_u64_e64 s2, s[20:21], s[10:11]
	s_add_nc_u64 s[18:19], s[18:19], 8
	s_add_nc_u64 s[22:23], s[22:23], 8
	v_add3_u32 v5, v13, v9, v5
	v_sub_co_u32 v9, vcc_lo, v10, v12
	s_wait_alu 0xfffd
	s_delay_alu instid0(VALU_DEP_2) | instskip(SKIP_2) | instid1(VALU_DEP_1)
	v_sub_co_ci_u32_e32 v5, vcc_lo, v11, v5, vcc_lo
	s_and_b32 vcc_lo, exec_lo, s2
	s_wait_kmcnt 0x0
	v_mul_lo_u32 v10, s26, v5
	v_mul_lo_u32 v11, s27, v9
	v_mad_co_u64_u32 v[6:7], null, s26, v9, v[6:7]
	v_mul_lo_u32 v5, s24, v5
	v_mul_lo_u32 v12, s25, v9
	v_mad_co_u64_u32 v[1:2], null, s24, v9, v[1:2]
	s_delay_alu instid0(VALU_DEP_4) | instskip(NEXT) | instid1(VALU_DEP_2)
	v_add3_u32 v7, v11, v7, v10
	v_add3_u32 v2, v12, v2, v5
	s_wait_alu 0xfffe
	s_cbranch_vccnz .LBB0_9
; %bb.7:                                ;   in Loop: Header=BB0_2 Depth=1
	v_dual_mov_b32 v11, v4 :: v_dual_mov_b32 v10, v3
	s_branch .LBB0_2
.LBB0_8:
	v_dual_mov_b32 v1, v6 :: v_dual_mov_b32 v2, v7
	v_dual_mov_b32 v3, v10 :: v_dual_mov_b32 v4, v11
.LBB0_9:
	s_load_b64 s[0:1], s[0:1], 0x28
	v_mul_hi_u32 v10, 0x11bb4a5, v0
	s_lshl_b64 s[10:11], s[10:11], 3
                                        ; implicit-def: $vgpr5
                                        ; implicit-def: $vgpr8_vgpr9
	s_wait_alu 0xfffe
	s_add_nc_u64 s[2:3], s[14:15], s[10:11]
	s_wait_kmcnt 0x0
	v_cmp_gt_u64_e32 vcc_lo, s[0:1], v[3:4]
	v_cmp_le_u64_e64 s0, s[0:1], v[3:4]
	s_delay_alu instid0(VALU_DEP_1)
	s_and_saveexec_b32 s1, s0
	s_wait_alu 0xfffe
	s_xor_b32 s0, exec_lo, s1
; %bb.10:
	v_mul_u32_u24_e32 v5, 0xe7, v10
	v_mov_b32_e32 v6, 0
                                        ; implicit-def: $vgpr10
	s_delay_alu instid0(VALU_DEP_2) | instskip(NEXT) | instid1(VALU_DEP_2)
	v_sub_nc_u32_e32 v5, v0, v5
	v_mov_b32_e32 v9, v6
                                        ; implicit-def: $vgpr0
	s_delay_alu instid0(VALU_DEP_2)
	v_mov_b32_e32 v8, v5
                                        ; implicit-def: $vgpr6_vgpr7
; %bb.11:
	s_wait_alu 0xfffe
	s_or_saveexec_b32 s1, s0
	s_load_b64 s[2:3], s[2:3], 0x0
	s_xor_b32 exec_lo, exec_lo, s1
	s_cbranch_execz .LBB0_15
; %bb.12:
	s_add_nc_u64 s[10:11], s[12:13], s[10:11]
	v_lshlrev_b64_e32 v[6:7], 2, v[6:7]
	s_load_b64 s[10:11], s[10:11], 0x0
	s_wait_kmcnt 0x0
	v_mul_lo_u32 v5, s11, v3
	v_mul_lo_u32 v11, s10, v4
	v_mad_co_u64_u32 v[8:9], null, s10, v3, 0
	s_delay_alu instid0(VALU_DEP_1) | instskip(SKIP_1) | instid1(VALU_DEP_2)
	v_add3_u32 v9, v9, v11, v5
	v_mul_u32_u24_e32 v5, 0xe7, v10
	v_lshlrev_b64_e32 v[8:9], 2, v[8:9]
	s_delay_alu instid0(VALU_DEP_2) | instskip(NEXT) | instid1(VALU_DEP_2)
	v_sub_nc_u32_e32 v5, v0, v5
	v_add_co_u32 v0, s0, s4, v8
	s_wait_alu 0xf1ff
	s_delay_alu instid0(VALU_DEP_3) | instskip(NEXT) | instid1(VALU_DEP_3)
	v_add_co_ci_u32_e64 v8, s0, s5, v9, s0
	v_lshlrev_b32_e32 v9, 2, v5
	s_delay_alu instid0(VALU_DEP_3) | instskip(SKIP_1) | instid1(VALU_DEP_3)
	v_add_co_u32 v10, s0, v0, v6
	s_wait_alu 0xf1ff
	v_add_co_ci_u32_e64 v11, s0, v8, v7, s0
	s_mov_b32 s4, exec_lo
	s_delay_alu instid0(VALU_DEP_2) | instskip(SKIP_1) | instid1(VALU_DEP_2)
	v_add_co_u32 v6, s0, v10, v9
	s_wait_alu 0xf1ff
	v_add_co_ci_u32_e64 v7, s0, 0, v11, s0
	s_clause 0x7
	global_load_b32 v0, v[6:7], off
	global_load_b32 v12, v[6:7], off offset:924
	global_load_b32 v13, v[6:7], off offset:1848
	;; [unrolled: 1-line block ×7, first 2 shown]
	v_mov_b32_e32 v6, 0
	s_delay_alu instid0(VALU_DEP_1) | instskip(NEXT) | instid1(VALU_DEP_1)
	v_dual_mov_b32 v9, v6 :: v_dual_add_nc_u32 v18, 0, v9
	v_dual_mov_b32 v8, v5 :: v_dual_add_nc_u32 v19, 0x700, v18
	v_add_nc_u32_e32 v20, 0xe40, v18
	v_add_nc_u32_e32 v21, 0x1580, v18
	s_wait_loadcnt 0x6
	ds_store_2addr_b32 v18, v0, v12 offset1:231
	s_wait_loadcnt 0x4
	ds_store_2addr_b32 v19, v13, v14 offset0:14 offset1:245
	s_wait_loadcnt 0x2
	ds_store_2addr_b32 v20, v15, v16 offset0:12 offset1:243
	;; [unrolled: 2-line block ×3, first 2 shown]
	v_cmpx_eq_u32_e32 0xe6, v5
	s_cbranch_execz .LBB0_14
; %bb.13:
	global_load_b32 v0, v[10:11], off offset:7392
	v_dual_mov_b32 v8, 0xe6 :: v_dual_mov_b32 v5, 0xe6
	v_mov_b32_e32 v9, 0
	s_wait_loadcnt 0x0
	ds_store_b32 v6, v0 offset:7392
.LBB0_14:
	s_wait_alu 0xfffe
	s_or_b32 exec_lo, exec_lo, s4
.LBB0_15:
	s_delay_alu instid0(SALU_CYCLE_1)
	s_or_b32 exec_lo, exec_lo, s1
	v_lshlrev_b32_e32 v6, 2, v5
	global_wb scope:SCOPE_SE
	s_wait_dscnt 0x0
	s_wait_kmcnt 0x0
	s_barrier_signal -1
	s_barrier_wait -1
	global_inv scope:SCOPE_SE
	v_add_nc_u32_e32 v0, 0, v6
	v_sub_nc_u32_e32 v11, 0, v6
	v_lshlrev_b64_e32 v[7:8], 2, v[8:9]
	s_mov_b32 s1, exec_lo
	ds_load_u16 v6, v0
	ds_load_u16 v10, v11 offset:7392
	s_wait_dscnt 0x0
	v_add_f16_e32 v12, v10, v6
	v_sub_f16_e32 v13, v6, v10
	v_cmpx_ne_u32_e32 0, v5
	s_wait_alu 0xfffe
	s_xor_b32 s1, exec_lo, s1
	s_cbranch_execz .LBB0_17
; %bb.16:
	v_add_co_u32 v12, s0, s8, v7
	s_wait_alu 0xf1ff
	v_add_co_ci_u32_e64 v13, s0, s9, v8, s0
	v_add_f16_e32 v14, v10, v6
	v_sub_f16_e32 v6, v6, v10
	global_load_b32 v9, v[12:13], off offset:7380
	ds_load_u16 v12, v11 offset:7394
	ds_load_u16 v13, v0 offset:2
	s_wait_dscnt 0x0
	v_add_f16_e32 v10, v12, v13
	v_sub_f16_e32 v12, v13, v12
	s_wait_loadcnt 0x0
	v_lshrrev_b32_e32 v15, 16, v9
	s_delay_alu instid0(VALU_DEP_1) | instskip(NEXT) | instid1(VALU_DEP_3)
	v_fma_f16 v16, -v6, v15, v14
	v_fma_f16 v17, v10, v15, -v12
	v_fma_f16 v14, v6, v15, v14
	v_fma_f16 v13, v10, v15, v12
	s_delay_alu instid0(VALU_DEP_4) | instskip(NEXT) | instid1(VALU_DEP_4)
	v_fmac_f16_e32 v16, v9, v10
	v_fmac_f16_e32 v17, v6, v9
	s_delay_alu instid0(VALU_DEP_4) | instskip(NEXT) | instid1(VALU_DEP_4)
	v_fma_f16 v12, -v9, v10, v14
	v_fmac_f16_e32 v13, v6, v9
	s_delay_alu instid0(VALU_DEP_3)
	v_pack_b32_f16 v10, v16, v17
	ds_store_b32 v11, v10 offset:7392
.LBB0_17:
	s_wait_alu 0xfffe
	s_and_not1_saveexec_b32 s0, s1
	s_cbranch_execz .LBB0_19
; %bb.18:
	v_mov_b32_e32 v6, 0
	ds_load_b32 v9, v6 offset:3696
	s_wait_dscnt 0x0
	v_pk_mul_f16 v9, 0xc0004000, v9
	ds_store_b32 v6, v9 offset:3696
.LBB0_19:
	s_wait_alu 0xfffe
	s_or_b32 exec_lo, exec_lo, s0
	v_mov_b32_e32 v6, 0
	s_add_nc_u64 s[0:1], s[8:9], 0x1cd4
	v_perm_b32 v12, v13, v12, 0x5040100
	s_delay_alu instid0(VALU_DEP_2) | instskip(SKIP_1) | instid1(VALU_DEP_1)
	v_lshlrev_b64_e32 v[9:10], 2, v[5:6]
	s_wait_alu 0xfffe
	v_add_co_u32 v14, s0, s0, v9
	s_wait_alu 0xf1ff
	s_delay_alu instid0(VALU_DEP_2)
	v_add_co_ci_u32_e64 v15, s0, s1, v10, s0
	v_cmp_gt_u32_e64 s0, 0x9a, v5
	s_clause 0x2
	global_load_b32 v6, v[14:15], off offset:924
	global_load_b32 v16, v[14:15], off offset:1848
	;; [unrolled: 1-line block ×3, first 2 shown]
	ds_store_b32 v0, v12
	ds_load_b32 v12, v0 offset:924
	ds_load_b32 v13, v11 offset:6468
	s_wait_dscnt 0x1
	v_lshrrev_b32_e32 v15, 16, v12
	s_wait_dscnt 0x0
	v_lshrrev_b32_e32 v17, 16, v13
	v_add_f16_e32 v18, v12, v13
	v_sub_f16_e32 v12, v12, v13
	s_delay_alu instid0(VALU_DEP_3) | instskip(SKIP_3) | instid1(VALU_DEP_1)
	v_add_f16_e32 v13, v17, v15
	v_sub_f16_e32 v15, v15, v17
	s_wait_loadcnt 0x2
	v_lshrrev_b32_e32 v19, 16, v6
	v_fma_f16 v17, v12, v19, v18
	s_delay_alu instid0(VALU_DEP_3) | instskip(SKIP_2) | instid1(VALU_DEP_4)
	v_fma_f16 v20, v13, v19, v15
	v_fma_f16 v18, -v12, v19, v18
	v_fma_f16 v15, v13, v19, -v15
	v_fma_f16 v17, -v6, v13, v17
	s_delay_alu instid0(VALU_DEP_4) | instskip(NEXT) | instid1(VALU_DEP_4)
	v_fmac_f16_e32 v20, v12, v6
	v_fmac_f16_e32 v18, v6, v13
	s_delay_alu instid0(VALU_DEP_4) | instskip(NEXT) | instid1(VALU_DEP_3)
	v_fmac_f16_e32 v15, v12, v6
	v_pack_b32_f16 v6, v17, v20
	s_wait_loadcnt 0x1
	v_lshrrev_b32_e32 v17, 16, v16
	s_delay_alu instid0(VALU_DEP_3)
	v_pack_b32_f16 v12, v18, v15
	ds_store_b32 v0, v6 offset:924
	ds_store_b32 v11, v12 offset:6468
	ds_load_b32 v6, v0 offset:1848
	ds_load_b32 v12, v11 offset:5544
	s_wait_dscnt 0x1
	v_lshrrev_b32_e32 v13, 16, v6
	s_wait_dscnt 0x0
	v_lshrrev_b32_e32 v15, 16, v12
	v_add_f16_e32 v18, v6, v12
	v_sub_f16_e32 v6, v6, v12
	s_delay_alu instid0(VALU_DEP_3) | instskip(SKIP_1) | instid1(VALU_DEP_3)
	v_add_f16_e32 v12, v15, v13
	v_sub_f16_e32 v13, v13, v15
	v_fma_f16 v15, v6, v17, v18
	v_fma_f16 v18, -v6, v17, v18
	s_delay_alu instid0(VALU_DEP_3) | instskip(SKIP_1) | instid1(VALU_DEP_4)
	v_fma_f16 v19, v12, v17, v13
	v_fma_f16 v13, v12, v17, -v13
	v_fma_f16 v15, -v16, v12, v15
	s_delay_alu instid0(VALU_DEP_4) | instskip(NEXT) | instid1(VALU_DEP_4)
	v_fmac_f16_e32 v18, v16, v12
	v_fmac_f16_e32 v19, v6, v16
	s_delay_alu instid0(VALU_DEP_4) | instskip(SKIP_2) | instid1(VALU_DEP_3)
	v_fmac_f16_e32 v13, v6, v16
	s_wait_loadcnt 0x0
	v_lshrrev_b32_e32 v16, 16, v14
	v_pack_b32_f16 v6, v15, v19
	s_delay_alu instid0(VALU_DEP_3)
	v_pack_b32_f16 v12, v18, v13
	ds_store_b32 v0, v6 offset:1848
	ds_store_b32 v11, v12 offset:5544
	ds_load_b32 v6, v0 offset:2772
	ds_load_b32 v12, v11 offset:4620
	s_wait_dscnt 0x1
	v_lshrrev_b32_e32 v13, 16, v6
	s_wait_dscnt 0x0
	v_lshrrev_b32_e32 v15, 16, v12
	v_add_f16_e32 v17, v6, v12
	v_sub_f16_e32 v6, v6, v12
	s_delay_alu instid0(VALU_DEP_3) | instskip(SKIP_1) | instid1(VALU_DEP_3)
	v_add_f16_e32 v12, v15, v13
	v_sub_f16_e32 v13, v13, v15
	v_fma_f16 v15, v6, v16, v17
	v_fma_f16 v17, -v6, v16, v17
	s_delay_alu instid0(VALU_DEP_3) | instskip(SKIP_1) | instid1(VALU_DEP_4)
	v_fma_f16 v18, v12, v16, v13
	v_fma_f16 v13, v12, v16, -v13
	v_fma_f16 v15, -v14, v12, v15
	s_delay_alu instid0(VALU_DEP_4) | instskip(SKIP_3) | instid1(VALU_DEP_2)
	v_fmac_f16_e32 v17, v14, v12
	v_add_nc_u32_e32 v16, 0x1300, v0
	v_fmac_f16_e32 v18, v6, v14
	v_fmac_f16_e32 v13, v6, v14
	v_pack_b32_f16 v6, v15, v18
	s_delay_alu instid0(VALU_DEP_2)
	v_pack_b32_f16 v12, v17, v13
	v_add_nc_u32_e32 v13, 0x600, v0
	v_add_nc_u32_e32 v17, 0xd00, v0
	ds_store_b32 v0, v6 offset:2772
	ds_store_b32 v11, v12 offset:4620
	global_wb scope:SCOPE_SE
	s_wait_dscnt 0x0
	s_barrier_signal -1
	s_barrier_wait -1
	global_inv scope:SCOPE_SE
	global_wb scope:SCOPE_SE
	s_barrier_signal -1
	s_barrier_wait -1
	global_inv scope:SCOPE_SE
	ds_load_2addr_b32 v[14:15], v0 offset1:231
	ds_load_2addr_b32 v[12:13], v13 offset0:78 offset1:232
	ds_load_2addr_b32 v[17:18], v17 offset0:15 offset1:246
	ds_load_b32 v6, v0 offset:6776
	ds_load_2addr_b32 v[19:20], v16 offset0:16 offset1:247
	v_lshlrev_b32_e32 v11, 3, v5
	global_wb scope:SCOPE_SE
	s_wait_dscnt 0x0
	s_barrier_signal -1
	s_barrier_wait -1
	global_inv scope:SCOPE_SE
	v_add_nc_u32_e32 v16, v0, v11
	s_delay_alu instid0(VALU_DEP_1)
	v_add_nc_u32_e32 v21, 0xad4, v16
	v_pk_add_f16 v11, v14, v13
	v_pk_add_f16 v22, v12, v18
	;; [unrolled: 1-line block ×3, first 2 shown]
	v_pk_add_f16 v18, v18, v6 neg_lo:[0,1] neg_hi:[0,1]
	v_pk_add_f16 v24, v13, v19
	v_pk_add_f16 v25, v13, v19 neg_lo:[0,1] neg_hi:[0,1]
	v_pk_add_f16 v26, v15, v17
	v_pk_add_f16 v27, v17, v20
	v_pk_add_f16 v17, v17, v20 neg_lo:[0,1] neg_hi:[0,1]
	v_pk_add_f16 v13, v22, v6
	v_pk_fma_f16 v6, v23, 0.5, v12 op_sel_hi:[1,0,1] neg_lo:[1,0,0] neg_hi:[1,0,0]
	v_pk_fma_f16 v12, v24, 0.5, v14 op_sel_hi:[1,0,1] neg_lo:[1,0,0] neg_hi:[1,0,0]
	v_pk_mul_f16 v14, 0x3aee, v25 op_sel_hi:[0,1]
	v_pk_mul_f16 v22, 0x3aee, v18 op_sel_hi:[0,1]
	v_pk_add_f16 v11, v11, v19
	v_pk_fma_f16 v15, v27, 0.5, v15 op_sel_hi:[1,0,1] neg_lo:[1,0,0] neg_hi:[1,0,0]
	v_pk_mul_f16 v19, 0x3aee, v17 op_sel_hi:[0,1]
	v_pk_add_f16 v17, v12, v14 op_sel:[0,1] op_sel_hi:[1,0]
	v_pk_add_f16 v12, v12, v14 op_sel:[0,1] op_sel_hi:[1,0] neg_lo:[0,1] neg_hi:[0,1]
	v_pk_add_f16 v14, v6, v22 op_sel:[0,1] op_sel_hi:[1,0] neg_lo:[0,1] neg_hi:[0,1]
	v_pk_add_f16 v18, v26, v20
	v_pk_add_f16 v20, v15, v19 op_sel:[0,1] op_sel_hi:[1,0]
	v_pk_add_f16 v19, v15, v19 op_sel:[0,1] op_sel_hi:[1,0] neg_lo:[0,1] neg_hi:[0,1]
	v_pk_add_f16 v15, v6, v22 op_sel:[0,1] op_sel_hi:[1,0]
	v_bfi_b32 v22, 0xffff, v12, v17
	v_lshrrev_b32_e32 v6, 16, v14
	v_bfi_b32 v23, 0xffff, v17, v12
	v_bfi_b32 v24, 0xffff, v19, v20
	;; [unrolled: 1-line block ×3, first 2 shown]
	ds_store_2addr_b32 v16, v11, v22 offset1:1
	ds_store_b32 v16, v23 offset:8
	ds_store_2addr_b32 v21, v18, v24 offset1:1
	ds_store_b32 v16, v25 offset:2780
	s_and_saveexec_b32 s1, s0
	s_cbranch_execz .LBB0_21
; %bb.20:
	v_bfi_b32 v21, 0xffff, v14, v15
	v_add_nc_u32_e32 v22, 0x15a8, v16
	v_perm_b32 v23, v6, v15, 0x5040100
	ds_store_2addr_b32 v22, v13, v21 offset1:1
	ds_store_b32 v16, v23 offset:5552
.LBB0_21:
	s_wait_alu 0xfffe
	s_or_b32 exec_lo, exec_lo, s1
	v_lshrrev_b32_e32 v35, 16, v12
	v_lshrrev_b32_e32 v36, 16, v19
	v_cmp_gt_u32_e64 s0, 0xa8, v5
	v_lshrrev_b32_e32 v45, 16, v13
	v_lshrrev_b32_e32 v46, 16, v15
	;; [unrolled: 1-line block ×5, first 2 shown]
	global_wb scope:SCOPE_SE
	s_wait_dscnt 0x0
	s_barrier_signal -1
	s_barrier_wait -1
	global_inv scope:SCOPE_SE
                                        ; implicit-def: $vgpr43
                                        ; implicit-def: $vgpr44
                                        ; implicit-def: $vgpr34
	s_and_saveexec_b32 s1, s0
	s_cbranch_execz .LBB0_23
; %bb.22:
	v_add_nc_u32_e32 v6, 0x1400, v0
	v_add_nc_u32_e32 v13, 0x400, v0
	;; [unrolled: 1-line block ×3, first 2 shown]
	ds_load_2addr_b32 v[11:12], v0 offset1:168
	ds_load_b32 v34, v0 offset:6720
	ds_load_2addr_b32 v[15:16], v6 offset0:64 offset1:232
	v_add_nc_u32_e32 v6, 0xf00, v0
	ds_load_2addr_b32 v[17:18], v13 offset0:80 offset1:248
	ds_load_2addr_b32 v[19:20], v14 offset0:32 offset1:200
	;; [unrolled: 1-line block ×3, first 2 shown]
	s_wait_dscnt 0x5
	v_lshrrev_b32_e32 v37, 16, v12
	s_wait_dscnt 0x4
	v_lshrrev_b32_e32 v44, 16, v34
	;; [unrolled: 2-line block ×3, first 2 shown]
	v_lshrrev_b32_e32 v43, 16, v16
	s_wait_dscnt 0x2
	v_lshrrev_b32_e32 v35, 16, v17
	v_lshrrev_b32_e32 v39, 16, v18
	s_wait_dscnt 0x1
	v_lshrrev_b32_e32 v47, 16, v19
	v_lshrrev_b32_e32 v36, 16, v20
	s_wait_dscnt 0x0
	v_lshrrev_b32_e32 v45, 16, v13
	v_lshrrev_b32_e32 v46, 16, v14
.LBB0_23:
	s_wait_alu 0xfffe
	s_or_b32 exec_lo, exec_lo, s1
	v_and_b32_e32 v21, 0xff, v5
	v_lshrrev_b32_e32 v26, 16, v11
	s_delay_alu instid0(VALU_DEP_2) | instskip(NEXT) | instid1(VALU_DEP_1)
	v_mul_lo_u16 v22, 0xab, v21
	v_lshrrev_b16 v23, 9, v22
	s_delay_alu instid0(VALU_DEP_1) | instskip(NEXT) | instid1(VALU_DEP_1)
	v_mul_lo_u16 v22, v23, 3
	v_sub_nc_u16 v22, v5, v22
	s_delay_alu instid0(VALU_DEP_1) | instskip(NEXT) | instid1(VALU_DEP_1)
	v_and_b32_e32 v22, 0xff, v22
	v_mul_u32_u24_e32 v24, 10, v22
	s_delay_alu instid0(VALU_DEP_1)
	v_lshlrev_b32_e32 v24, 2, v24
	s_clause 0x2
	global_load_b128 v[48:51], v24, s[8:9]
	global_load_b128 v[52:55], v24, s[8:9] offset:16
	global_load_b64 v[56:57], v24, s[8:9] offset:32
	global_wb scope:SCOPE_SE
	s_wait_loadcnt 0x0
	s_barrier_signal -1
	s_barrier_wait -1
	global_inv scope:SCOPE_SE
	v_lshrrev_b32_e32 v24, 16, v48
	v_lshrrev_b32_e32 v28, 16, v51
	;; [unrolled: 1-line block ×8, first 2 shown]
	v_mul_f16_e32 v38, v37, v24
	v_mul_f16_e32 v60, v12, v24
	;; [unrolled: 1-line block ×5, first 2 shown]
	v_lshrrev_b32_e32 v41, 16, v54
	v_mul_f16_e32 v33, v35, v25
	v_mul_f16_e32 v61, v17, v25
	v_mul_f16_e32 v32, v39, v27
	v_mul_f16_e32 v62, v18, v27
	v_mul_f16_e32 v63, v19, v28
	v_mul_f16_e32 v30, v36, v29
	v_mul_f16_e32 v27, v6, v42
	v_mul_f16_e32 v67, v15, v42
	v_mul_f16_e32 v25, v43, v58
	v_mul_f16_e32 v58, v16, v58
	v_fma_f16 v42, v37, v48, -v60
	v_fmac_f16_e32 v31, v19, v51
	v_fma_f16 v19, v44, v57, -v59
	v_lshrrev_b32_e32 v40, 16, v53
	v_mul_f16_e32 v64, v20, v29
	v_mul_f16_e32 v28, v46, v41
	;; [unrolled: 1-line block ×3, first 2 shown]
	v_fmac_f16_e32 v38, v12, v48
	v_fma_f16 v41, v35, v49, -v61
	v_fmac_f16_e32 v30, v20, v52
	v_fmac_f16_e32 v24, v34, v57
	v_fma_f16 v20, v43, v56, -v58
	v_add_f16_e32 v80, v42, v19
	v_sub_f16_e32 v87, v42, v19
	v_mul_f16_e32 v29, v45, v40
	v_mul_f16_e32 v65, v13, v40
	v_fmac_f16_e32 v33, v17, v49
	v_fma_f16 v40, v39, v50, -v62
	v_fmac_f16_e32 v28, v14, v54
	v_fma_f16 v35, v46, v54, -v66
	v_fma_f16 v34, v6, v55, -v67
	v_fmac_f16_e32 v25, v16, v56
	v_add_f16_e32 v61, v38, v24
	v_sub_f16_e32 v86, v38, v24
	v_add_f16_e32 v83, v41, v20
	v_sub_f16_e32 v93, v41, v20
	v_mul_f16_e32 v43, 0xb853, v87
	v_mul_f16_e32 v48, 0x3abb, v80
	;; [unrolled: 1-line block ×8, first 2 shown]
	v_fmac_f16_e32 v32, v18, v50
	v_fma_f16 v39, v47, v51, -v63
	v_fma_f16 v37, v36, v52, -v64
	v_fmac_f16_e32 v29, v13, v53
	v_fmac_f16_e32 v27, v15, v55
	v_add_f16_e32 v69, v33, v25
	v_sub_f16_e32 v79, v33, v25
	v_add_f16_e32 v89, v40, v34
	v_sub_f16_e32 v98, v40, v34
	v_mul_f16_e32 v44, 0xbb47, v93
	v_mul_f16_e32 v49, 0x36a6, v83
	;; [unrolled: 1-line block ×8, first 2 shown]
	v_fma_f16 v6, v61, 0x3abb, -v43
	v_fmamk_f16 v12, v86, 0xb853, v48
	v_fma_f16 v13, v61, 0x36a6, -v54
	v_fmamk_f16 v14, v86, 0xbb47, v58
	;; [unrolled: 2-line block ×4, first 2 shown]
	v_fma_f16 v36, v45, v53, -v65
	v_add_f16_e32 v70, v32, v27
	v_sub_f16_e32 v73, v32, v27
	v_add_f16_e32 v91, v39, v35
	v_sub_f16_e32 v100, v39, v35
	v_mul_f16_e32 v45, 0xbbeb, v98
	v_mul_f16_e32 v50, 0xb08e, v89
	v_mul_f16_e32 v52, 0x3482, v98
	v_mul_f16_e32 v62, 0xbbad, v89
	v_mul_f16_e32 v65, 0x3b47, v98
	v_mul_f16_e32 v78, 0x36a6, v89
	v_mul_f16_e32 v81, 0xb853, v98
	v_mul_f16_e32 v90, 0x3abb, v89
	v_fma_f16 v103, v69, 0x36a6, -v44
	v_fmamk_f16 v104, v79, 0xbb47, v49
	v_fma_f16 v105, v69, 0xb93d, -v55
	v_fmamk_f16 v106, v79, 0xba0c, v60
	;; [unrolled: 2-line block ×4, first 2 shown]
	v_add_f16_e32 v6, v11, v6
	v_add_f16_e32 v12, v26, v12
	;; [unrolled: 1-line block ×9, first 2 shown]
	v_sub_f16_e32 v71, v31, v28
	v_add_f16_e32 v96, v37, v36
	v_sub_f16_e32 v101, v37, v36
	v_mul_f16_e32 v47, 0xba0c, v100
	v_mul_f16_e32 v51, 0xb93d, v91
	;; [unrolled: 1-line block ×8, first 2 shown]
	v_fma_f16 v111, v70, 0xb08e, -v45
	v_fmamk_f16 v112, v73, 0xbbeb, v50
	v_fma_f16 v113, v70, 0xbbad, -v52
	v_fmamk_f16 v114, v73, 0x3482, v62
	;; [unrolled: 2-line block ×4, first 2 shown]
	v_add_f16_e32 v6, v103, v6
	v_add_f16_e32 v12, v104, v12
	;; [unrolled: 1-line block ×9, first 2 shown]
	v_sub_f16_e32 v74, v30, v29
	v_mul_f16_e32 v46, 0xb482, v101
	v_mul_f16_e32 v57, 0xbbad, v96
	;; [unrolled: 1-line block ×8, first 2 shown]
	v_fma_f16 v119, v68, 0xb93d, -v47
	v_fmamk_f16 v120, v71, 0xba0c, v51
	v_fma_f16 v121, v68, 0xb08e, -v53
	v_fmamk_f16 v122, v71, 0x3beb, v59
	;; [unrolled: 2-line block ×4, first 2 shown]
	v_add_f16_e32 v6, v111, v6
	v_add_f16_e32 v12, v112, v12
	;; [unrolled: 1-line block ×8, first 2 shown]
	v_fma_f16 v107, v67, 0xbbad, -v46
	v_fmamk_f16 v108, v74, 0xb482, v57
	v_fma_f16 v109, v67, 0x3abb, -v56
	v_fmamk_f16 v110, v74, 0x3853, v77
	;; [unrolled: 2-line block ×4, first 2 shown]
	v_add_f16_e32 v6, v119, v6
	v_add_f16_e32 v12, v120, v12
	;; [unrolled: 1-line block ×16, first 2 shown]
	s_and_saveexec_b32 s1, s0
	s_cbranch_execz .LBB0_25
; %bb.24:
	v_mul_f16_e32 v104, 0xb482, v86
	v_mul_f16_e32 v87, 0xb482, v87
	;; [unrolled: 1-line block ×5, first 2 shown]
	v_fmamk_f16 v109, v80, 0xbbad, v104
	v_fma_f16 v115, v61, 0xbbad, -v87
	v_fmamk_f16 v113, v83, 0x3abb, v110
	v_fma_f16 v117, v69, 0x3abb, -v93
	v_mul_f16_e32 v98, 0xba0c, v98
	v_add_f16_e32 v109, v26, v109
	v_add_f16_e32 v115, v11, v115
	v_mul_f16_e32 v116, 0x3b47, v71
	v_mul_f16_e32 v100, 0x3b47, v100
	v_fma_f16 v80, v80, 0xbbad, -v104
	v_add_f16_e32 v109, v113, v109
	v_fmamk_f16 v113, v89, 0xb93d, v114
	v_add_f16_e32 v115, v117, v115
	v_fma_f16 v117, v70, 0xb93d, -v98
	v_add_f16_e32 v80, v26, v80
	v_fma_f16 v83, v83, 0x3abb, -v110
	v_add_f16_e32 v109, v113, v109
	v_fmamk_f16 v113, v91, 0x36a6, v116
	v_add_f16_e32 v115, v117, v115
	v_fma_f16 v117, v68, 0x36a6, -v100
	v_mul_f16_e32 v101, 0xbbeb, v101
	v_mul_f16_e32 v105, 0xb853, v86
	;; [unrolled: 1-line block ×6, first 2 shown]
	v_add_f16_e32 v109, v113, v109
	v_mul_f16_e32 v113, 0xbbeb, v74
	v_add_f16_e32 v115, v117, v115
	v_add_f16_e32 v80, v83, v80
	v_fma_f16 v83, v67, 0xb08e, -v101
	v_fma_f16 v89, v89, 0xb93d, -v114
	v_fmac_f16_e32 v87, 0xbbad, v61
	v_mul_f16_e32 v104, 0xbb47, v79
	v_mul_f16_e32 v110, 0xb93d, v69
	v_fmamk_f16 v117, v96, 0xb08e, v113
	v_mul_f16_e32 v114, 0xba0c, v79
	v_add_f16_e32 v83, v83, v115
	v_mul_f16_e32 v115, 0x3482, v79
	v_add_f16_e32 v80, v89, v80
	v_mul_f16_e32 v79, 0x3beb, v79
	v_fma_f16 v91, v91, 0x36a6, -v116
	v_fmac_f16_e32 v93, 0x3abb, v69
	v_add_f16_e32 v87, v11, v87
	v_sub_f16_e32 v86, v95, v86
	v_add_f16_e32 v54, v106, v54
	v_mul_f16_e32 v112, 0xb93d, v61
	v_mul_f16_e32 v118, 0x36a6, v69
	v_add_f16_e32 v109, v117, v109
	v_mul_f16_e32 v117, 0xbbad, v69
	v_mul_f16_e32 v89, 0xb08e, v69
	;; [unrolled: 1-line block ×4, first 2 shown]
	v_add_f16_e32 v80, v91, v80
	v_mul_f16_e32 v91, 0x3482, v73
	v_fma_f16 v96, v96, 0xb08e, -v113
	v_add_f16_e32 v87, v93, v87
	v_mul_f16_e32 v93, 0x3b47, v73
	v_mul_f16_e32 v73, 0xb853, v73
	v_fmac_f16_e32 v98, 0xb93d, v70
	v_sub_f16_e32 v79, v94, v79
	v_add_f16_e32 v86, v26, v86
	v_add_f16_e32 v54, v11, v54
	;; [unrolled: 1-line block ×5, first 2 shown]
	v_mul_f16_e32 v94, 0xba0c, v71
	v_add_f16_e32 v80, v96, v80
	v_mul_f16_e32 v96, 0xb08e, v68
	v_add_f16_e32 v87, v98, v87
	;; [unrolled: 2-line block ×3, first 2 shown]
	v_add_f16_e32 v85, v112, v85
	v_mul_f16_e32 v112, 0xb853, v71
	v_sub_f16_e32 v73, v90, v73
	v_mul_f16_e32 v71, 0xb482, v71
	v_add_f16_e32 v54, v55, v54
	v_add_f16_e32 v52, v69, v52
	;; [unrolled: 1-line block ×4, first 2 shown]
	v_mul_f16_e32 v103, 0x3abb, v61
	v_mul_f16_e32 v108, 0xb08e, v61
	v_add_f16_e32 v84, v89, v84
	v_mul_f16_e32 v89, 0xb482, v74
	v_add_f16_e32 v73, v73, v79
	v_sub_f16_e32 v71, v88, v71
	v_mul_f16_e32 v88, 0x3853, v74
	v_sub_f16_e32 v76, v76, v111
	v_mul_f16_e32 v111, 0xba0c, v74
	v_mul_f16_e32 v74, 0x3b47, v74
	v_sub_f16_e32 v58, v58, v107
	v_sub_f16_e32 v48, v48, v105
	v_add_f16_e32 v42, v52, v54
	v_add_f16_e32 v32, v33, v32
	;; [unrolled: 1-line block ×5, first 2 shown]
	v_sub_f16_e32 v73, v102, v74
	v_add_f16_e32 v74, v26, v76
	v_add_f16_e32 v66, v108, v66
	;; [unrolled: 1-line block ×4, first 2 shown]
	v_sub_f16_e32 v41, v49, v104
	v_add_f16_e32 v31, v32, v31
	v_add_f16_e32 v32, v33, v42
	;; [unrolled: 1-line block ×8, first 2 shown]
	v_sub_f16_e32 v31, v50, v116
	v_add_f16_e32 v11, v11, v33
	v_add_f16_e32 v33, v39, v37
	v_mul_f16_e32 v61, 0xb08e, v70
	v_add_f16_e32 v37, v118, v44
	v_add_f16_e32 v29, v30, v29
	v_add_f16_e32 v26, v31, v26
	v_sub_f16_e32 v30, v51, v94
	v_add_f16_e32 v31, v33, v36
	v_mul_f16_e32 v113, 0x36a6, v70
	v_mul_f16_e32 v95, 0x3abb, v70
	;; [unrolled: 1-line block ×3, first 2 shown]
	v_fmac_f16_e32 v100, 0x36a6, v68
	v_sub_f16_e32 v75, v75, v115
	v_add_f16_e32 v64, v117, v64
	v_sub_f16_e32 v60, v60, v114
	v_add_f16_e32 v11, v37, v11
	v_add_f16_e32 v28, v29, v28
	;; [unrolled: 1-line block ×5, first 2 shown]
	v_mul_f16_e32 v86, 0x3abb, v68
	v_mul_f16_e32 v90, 0xbbad, v68
	;; [unrolled: 1-line block ×4, first 2 shown]
	v_add_f16_e32 v87, v100, v87
	v_mul_f16_e32 v100, 0xb93d, v67
	v_add_f16_e32 v84, v84, v85
	v_mul_f16_e32 v85, 0x36a6, v67
	v_fmac_f16_e32 v101, 0xb08e, v67
	v_add_f16_e32 v67, v73, v71
	v_add_f16_e32 v71, v75, v74
	v_sub_f16_e32 v73, v78, v93
	v_add_f16_e32 v64, v64, v66
	v_add_f16_e32 v65, v113, v65
	;; [unrolled: 1-line block ×3, first 2 shown]
	v_sub_f16_e32 v60, v62, v91
	v_add_f16_e32 v27, v28, v27
	v_add_f16_e32 v11, v29, v11
	v_add_f16_e32 v28, v70, v47
	v_add_f16_e32 v29, v30, v34
	v_add_f16_e32 v81, v95, v81
	v_add_f16_e32 v71, v73, v71
	v_sub_f16_e32 v72, v72, v112
	v_add_f16_e32 v64, v65, v64
	v_add_f16_e32 v63, v86, v63
	v_add_f16_e32 v58, v60, v58
	v_sub_f16_e32 v59, v59, v98
	v_sub_f16_e32 v31, v57, v89
	v_add_f16_e32 v25, v27, v25
	v_and_b32_e32 v23, 0xffff, v23
	v_add_f16_e32 v11, v28, v11
	v_add_f16_e32 v20, v29, v20
	v_add_f16_e32 v27, v68, v46
	v_add_f16_e32 v76, v81, v84
	v_add_f16_e32 v81, v90, v82
	v_add_f16_e32 v71, v72, v71
	v_sub_f16_e32 v72, v97, v111
	v_add_f16_e32 v60, v63, v64
	v_add_f16_e32 v63, v100, v92
	;; [unrolled: 1-line block ×3, first 2 shown]
	v_sub_f16_e32 v38, v77, v88
	v_add_f16_e32 v26, v31, v26
	v_add_f16_e32 v24, v25, v24
	v_mul_u32_u24_e32 v23, 0x84, v23
	v_lshlrev_b32_e32 v22, 2, v22
	v_add_f16_e32 v19, v20, v19
	v_add_f16_e32 v11, v27, v11
	;; [unrolled: 1-line block ×7, first 2 shown]
	v_add3_u32 v22, 0, v23, v22
	v_pack_b32_f16 v19, v24, v19
	v_pack_b32_f16 v11, v11, v26
	v_add_f16_e32 v20, v20, v32
	v_add_f16_e32 v23, v63, v60
	;; [unrolled: 1-line block ×4, first 2 shown]
	ds_store_2addr_b32 v22, v19, v11 offset1:3
	v_pack_b32_f16 v11, v20, v25
	v_pack_b32_f16 v19, v23, v62
	;; [unrolled: 1-line block ×5, first 2 shown]
	v_perm_b32 v25, v12, v6, 0x5040100
	v_perm_b32 v26, v18, v17, 0x5040100
	;; [unrolled: 1-line block ×4, first 2 shown]
	ds_store_2addr_b32 v22, v11, v19 offset0:6 offset1:9
	ds_store_2addr_b32 v22, v20, v23 offset0:12 offset1:15
	;; [unrolled: 1-line block ×4, first 2 shown]
	ds_store_b32 v22, v28 offset:120
.LBB0_25:
	s_wait_alu 0xfffe
	s_or_b32 exec_lo, exec_lo, s1
	global_wb scope:SCOPE_SE
	s_wait_dscnt 0x0
	s_barrier_signal -1
	s_barrier_wait -1
	global_inv scope:SCOPE_SE
	ds_load_b32 v25, v0
	ds_load_b32 v31, v0 offset:1056
	ds_load_b32 v30, v0 offset:2112
	;; [unrolled: 1-line block ×6, first 2 shown]
	v_cmp_gt_u32_e64 s0, 33, v5
                                        ; implicit-def: $vgpr20
                                        ; implicit-def: $vgpr11
                                        ; implicit-def: $vgpr24
                                        ; implicit-def: $vgpr23
                                        ; implicit-def: $vgpr22
                                        ; implicit-def: $vgpr19
	s_delay_alu instid0(VALU_DEP_1)
	s_and_saveexec_b32 s1, s0
	s_cbranch_execz .LBB0_27
; %bb.26:
	ds_load_b32 v6, v0 offset:924
	ds_load_b32 v13, v0 offset:4092
	;; [unrolled: 1-line block ×6, first 2 shown]
	ds_load_u16 v14, v0 offset:3038
	ds_load_b32 v16, v0 offset:3036
	s_wait_dscnt 0x7
	v_lshrrev_b32_e32 v12, 16, v6
	s_wait_dscnt 0x6
	v_lshrrev_b32_e32 v15, 16, v13
	;; [unrolled: 2-line block ×6, first 2 shown]
.LBB0_27:
	s_wait_alu 0xfffe
	s_or_b32 exec_lo, exec_lo, s1
	v_mul_lo_u16 v21, 0xf9, v21
	s_wait_dscnt 0x5
	v_lshrrev_b32_e32 v39, 16, v31
	s_wait_dscnt 0x4
	v_lshrrev_b32_e32 v40, 16, v30
	;; [unrolled: 2-line block ×4, first 2 shown]
	v_lshrrev_b16 v21, 13, v21
	s_wait_dscnt 0x0
	v_lshrrev_b32_e32 v44, 16, v29
	v_lshrrev_b32_e32 v41, 16, v28
	;; [unrolled: 1-line block ×3, first 2 shown]
	v_mul_lo_u16 v32, v21, 33
	v_and_b32_e32 v21, 0xffff, v21
	s_delay_alu instid0(VALU_DEP_2) | instskip(NEXT) | instid1(VALU_DEP_2)
	v_sub_nc_u16 v32, v5, v32
	v_mul_u32_u24_e32 v21, 0x39c, v21
	s_delay_alu instid0(VALU_DEP_2) | instskip(NEXT) | instid1(VALU_DEP_1)
	v_and_b32_e32 v38, 0xff, v32
	v_mul_u32_u24_e32 v32, 6, v38
	v_lshlrev_b32_e32 v38, 2, v38
	s_delay_alu instid0(VALU_DEP_2) | instskip(NEXT) | instid1(VALU_DEP_2)
	v_lshlrev_b32_e32 v36, 2, v32
	v_add3_u32 v21, 0, v21, v38
	s_clause 0x1
	global_load_b128 v[32:35], v36, s[8:9] offset:120
	global_load_b64 v[36:37], v36, s[8:9] offset:136
	global_wb scope:SCOPE_SE
	s_wait_loadcnt 0x0
	s_barrier_signal -1
	s_barrier_wait -1
	global_inv scope:SCOPE_SE
	v_lshrrev_b32_e32 v38, 16, v32
	v_lshrrev_b32_e32 v46, 16, v33
	;; [unrolled: 1-line block ×6, first 2 shown]
	v_mul_f16_e32 v51, v38, v39
	v_mul_f16_e32 v38, v38, v31
	;; [unrolled: 1-line block ×12, first 2 shown]
	v_fmac_f16_e32 v51, v32, v31
	v_fma_f16 v31, v32, v39, -v38
	v_fmac_f16_e32 v52, v33, v30
	v_fma_f16 v30, v33, v40, -v46
	v_fmac_f16_e32 v54, v35, v27
	v_fmac_f16_e32 v56, v37, v29
	v_fma_f16 v27, v37, v44, -v50
	v_fmac_f16_e32 v55, v36, v26
	v_fma_f16 v26, v36, v43, -v49
	v_fmac_f16_e32 v53, v34, v28
	v_fma_f16 v28, v34, v41, -v47
	v_fma_f16 v29, v35, v42, -v48
	v_add_f16_e32 v32, v51, v56
	v_add_f16_e32 v33, v31, v27
	v_sub_f16_e32 v27, v31, v27
	v_add_f16_e32 v31, v52, v55
	v_add_f16_e32 v35, v30, v26
	v_sub_f16_e32 v36, v52, v55
	v_sub_f16_e32 v26, v30, v26
	v_add_f16_e32 v30, v53, v54
	v_add_f16_e32 v37, v28, v29
	v_sub_f16_e32 v38, v54, v53
	;; [unrolled: 4-line block ×3, first 2 shown]
	v_sub_f16_e32 v40, v31, v32
	v_sub_f16_e32 v41, v35, v33
	;; [unrolled: 1-line block ×6, first 2 shown]
	v_add_f16_e32 v42, v38, v36
	v_add_f16_e32 v43, v28, v26
	v_sub_f16_e32 v44, v38, v36
	v_sub_f16_e32 v46, v28, v26
	;; [unrolled: 1-line block ×3, first 2 shown]
	v_add_f16_e32 v29, v30, v29
	v_add_f16_e32 v30, v37, v39
	v_sub_f16_e32 v36, v36, v34
	v_sub_f16_e32 v38, v34, v38
	;; [unrolled: 1-line block ×3, first 2 shown]
	v_add_f16_e32 v34, v42, v34
	v_add_f16_e32 v27, v43, v27
	v_mul_f16_e32 v32, 0x3a52, v32
	v_mul_f16_e32 v33, 0x3a52, v33
	;; [unrolled: 1-line block ×7, first 2 shown]
	v_add_f16_e32 v25, v29, v25
	v_add_f16_e32 v45, v30, v45
	v_mul_f16_e32 v44, 0xbb00, v36
	v_fmamk_f16 v31, v31, 0x2b26, v32
	v_fmamk_f16 v35, v35, 0x2b26, v33
	v_fma_f16 v37, v40, 0x39e0, -v37
	v_fma_f16 v39, v41, 0x39e0, -v39
	;; [unrolled: 1-line block ×4, first 2 shown]
	v_fmamk_f16 v40, v38, 0xb574, v42
	v_fmamk_f16 v41, v28, 0xb574, v43
	v_fma_f16 v26, v26, 0xbb00, -v43
	v_fma_f16 v28, v28, 0x3574, -v46
	v_fmamk_f16 v29, v29, 0xbcab, v25
	v_fmamk_f16 v30, v30, 0xbcab, v45
	v_fma_f16 v36, v36, 0xbb00, -v42
	v_fma_f16 v38, v38, 0x3574, -v44
	v_fmac_f16_e32 v40, 0xb70e, v34
	v_fmac_f16_e32 v41, 0xb70e, v27
	;; [unrolled: 1-line block ×4, first 2 shown]
	v_add_f16_e32 v27, v31, v29
	v_add_f16_e32 v31, v35, v30
	v_fmac_f16_e32 v36, 0xb70e, v34
	v_fmac_f16_e32 v38, 0xb70e, v34
	v_add_f16_e32 v34, v37, v29
	v_add_f16_e32 v29, v32, v29
	;; [unrolled: 1-line block ×5, first 2 shown]
	v_sub_f16_e32 v35, v31, v40
	v_add_f16_e32 v37, v28, v29
	v_sub_f16_e32 v39, v32, v38
	v_sub_f16_e32 v42, v34, v26
	v_add_f16_e32 v43, v36, v30
	v_add_f16_e32 v26, v26, v34
	v_sub_f16_e32 v30, v30, v36
	v_sub_f16_e32 v28, v29, v28
	v_add_f16_e32 v29, v38, v32
	v_sub_f16_e32 v27, v27, v41
	v_add_f16_e32 v31, v40, v31
	v_pack_b32_f16 v25, v25, v45
	v_pack_b32_f16 v32, v33, v35
	;; [unrolled: 1-line block ×7, first 2 shown]
	ds_store_2addr_b32 v21, v25, v32 offset1:33
	ds_store_2addr_b32 v21, v33, v34 offset0:66 offset1:99
	ds_store_2addr_b32 v21, v26, v28 offset0:132 offset1:165
	ds_store_b32 v21, v27 offset:792
	s_and_saveexec_b32 s1, s0
	s_cbranch_execz .LBB0_29
; %bb.28:
	v_add_nc_u32_e32 v21, 0xe7, v5
	s_delay_alu instid0(VALU_DEP_1) | instskip(NEXT) | instid1(VALU_DEP_1)
	v_and_b32_e32 v25, 0xffff, v21
	v_mul_u32_u24_e32 v25, 0xf83f, v25
	s_delay_alu instid0(VALU_DEP_1) | instskip(NEXT) | instid1(VALU_DEP_1)
	v_lshrrev_b32_e32 v25, 21, v25
	v_mul_lo_u16 v25, v25, 33
	s_delay_alu instid0(VALU_DEP_1) | instskip(NEXT) | instid1(VALU_DEP_1)
	v_sub_nc_u16 v21, v21, v25
	v_and_b32_e32 v21, 0xffff, v21
	s_delay_alu instid0(VALU_DEP_1) | instskip(SKIP_1) | instid1(VALU_DEP_2)
	v_mul_u32_u24_e32 v25, 6, v21
	v_lshl_add_u32 v21, v21, 2, 0
	v_lshlrev_b32_e32 v29, 2, v25
	s_delay_alu instid0(VALU_DEP_2)
	v_add_nc_u32_e32 v31, 0x1800, v21
	s_clause 0x1
	global_load_b128 v[25:28], v29, s[8:9] offset:120
	global_load_b64 v[29:30], v29, s[8:9] offset:136
	s_wait_loadcnt 0x1
	v_lshrrev_b32_e32 v32, 16, v25
	v_lshrrev_b32_e32 v33, 16, v26
	s_wait_loadcnt 0x0
	v_lshrrev_b32_e32 v34, 16, v30
	v_lshrrev_b32_e32 v35, 16, v28
	;; [unrolled: 1-line block ×4, first 2 shown]
	v_mul_f16_e32 v38, v18, v32
	v_mul_f16_e32 v39, v24, v34
	;; [unrolled: 1-line block ×12, first 2 shown]
	v_fmac_f16_e32 v38, v17, v25
	v_fmac_f16_e32 v39, v23, v30
	;; [unrolled: 1-line block ×6, first 2 shown]
	v_fma_f16 v11, v24, v30, -v34
	v_fma_f16 v13, v18, v25, -v32
	;; [unrolled: 1-line block ×6, first 2 shown]
	v_add_f16_e32 v22, v13, v11
	v_add_f16_e32 v25, v38, v39
	;; [unrolled: 1-line block ×4, first 2 shown]
	v_sub_f16_e32 v18, v38, v39
	v_sub_f16_e32 v19, v40, v41
	;; [unrolled: 1-line block ×3, first 2 shown]
	v_add_f16_e32 v23, v15, v16
	v_add_f16_e32 v26, v41, v40
	v_sub_f16_e32 v11, v13, v11
	v_sub_f16_e32 v13, v16, v15
	;; [unrolled: 1-line block ×3, first 2 shown]
	v_add_f16_e32 v29, v24, v22
	v_add_f16_e32 v33, v27, v25
	v_sub_f16_e32 v15, v18, v19
	v_sub_f16_e32 v16, v19, v20
	v_add_f16_e32 v17, v19, v20
	v_sub_f16_e32 v19, v22, v23
	v_sub_f16_e32 v28, v23, v24
	;; [unrolled: 1-line block ×6, first 2 shown]
	v_add_f16_e32 v13, v13, v14
	v_sub_f16_e32 v20, v20, v18
	v_sub_f16_e32 v14, v14, v11
	v_add_f16_e32 v23, v23, v29
	v_add_f16_e32 v26, v26, v33
	v_sub_f16_e32 v22, v24, v22
	v_sub_f16_e32 v24, v27, v25
	v_mul_f16_e32 v16, 0x3846, v16
	v_add_f16_e32 v17, v17, v18
	v_mul_f16_e32 v18, 0x3a52, v19
	v_mul_f16_e32 v19, 0x2b26, v28
	;; [unrolled: 1-line block ×4, first 2 shown]
	v_add_f16_e32 v11, v13, v11
	v_mul_f16_e32 v13, 0xbb00, v20
	v_mul_f16_e32 v30, 0xbb00, v14
	v_add_f16_e32 v12, v12, v23
	v_add_f16_e32 v6, v6, v26
	v_mul_f16_e32 v27, 0x2b26, v32
	v_fmamk_f16 v33, v15, 0xb574, v16
	v_fmamk_f16 v28, v28, 0x2b26, v18
	;; [unrolled: 1-line block ×4, first 2 shown]
	v_fma_f16 v13, v15, 0x3574, -v13
	v_fma_f16 v15, v22, 0xb9e0, -v18
	;; [unrolled: 1-line block ×6, first 2 shown]
	v_fmamk_f16 v22, v23, 0xbcab, v12
	v_fmamk_f16 v23, v26, 0xbcab, v6
	v_fma_f16 v16, v20, 0xbb00, -v16
	v_fma_f16 v20, v24, 0x39e0, -v27
	v_fmac_f16_e32 v33, 0xb70e, v17
	v_fmac_f16_e32 v35, 0xb70e, v11
	v_fmac_f16_e32 v25, 0xb70e, v11
	v_fmac_f16_e32 v14, 0xb70e, v11
	v_pack_b32_f16 v6, v6, v12
	v_add_f16_e32 v11, v28, v22
	v_add_f16_e32 v12, v32, v23
	v_fmac_f16_e32 v13, 0xb70e, v17
	v_fmac_f16_e32 v16, 0xb70e, v17
	v_add_f16_e32 v15, v15, v22
	v_add_f16_e32 v17, v18, v23
	;; [unrolled: 1-line block ×5, first 2 shown]
	v_sub_f16_e32 v22, v12, v35
	v_sub_f16_e32 v11, v11, v33
	v_add_f16_e32 v12, v35, v12
	v_add_f16_e32 v23, v13, v15
	v_sub_f16_e32 v24, v18, v16
	v_add_f16_e32 v16, v16, v18
	v_sub_f16_e32 v13, v15, v13
	v_add_f16_e32 v15, v25, v17
	v_sub_f16_e32 v18, v19, v14
	v_add_f16_e32 v14, v14, v19
	v_sub_f16_e32 v17, v17, v25
	v_pack_b32_f16 v11, v12, v11
	v_pack_b32_f16 v12, v15, v13
	;; [unrolled: 1-line block ×6, first 2 shown]
	ds_store_2addr_b32 v31, v6, v11 offset0:81 offset1:114
	ds_store_2addr_b32 v31, v12, v13 offset0:147 offset1:180
	;; [unrolled: 1-line block ×3, first 2 shown]
	ds_store_b32 v21, v16 offset:7260
.LBB0_29:
	s_wait_alu 0xfffe
	s_or_b32 exec_lo, exec_lo, s1
	v_mul_u32_u24_e32 v6, 3, v5
	global_wb scope:SCOPE_SE
	s_wait_dscnt 0x0
	s_barrier_signal -1
	s_barrier_wait -1
	global_inv scope:SCOPE_SE
	v_lshlrev_b32_e32 v6, 2, v6
	v_add_nc_u32_e32 v22, 0x700, v0
	v_add_nc_u32_e32 v23, 0xe40, v0
	;; [unrolled: 1-line block ×3, first 2 shown]
	global_load_b96 v[11:13], v6, s[8:9] offset:912
	ds_load_2addr_b32 v[14:15], v0 offset1:231
	ds_load_2addr_b32 v[16:17], v22 offset0:14 offset1:245
	ds_load_2addr_b32 v[18:19], v23 offset0:12 offset1:243
	;; [unrolled: 1-line block ×3, first 2 shown]
	ds_load_u16 v25, v0 offset:6470
	v_add_co_u32 v6, s0, s8, v7
	s_wait_alu 0xf1ff
	v_add_co_ci_u32_e64 v7, s0, s9, v8, s0
	v_add_co_u32 v8, s0, s8, v9
	s_wait_alu 0xf1ff
	v_add_co_ci_u32_e64 v9, s0, s9, v10, s0
	global_wb scope:SCOPE_SE
	s_wait_loadcnt_dscnt 0x0
	s_barrier_signal -1
	s_barrier_wait -1
	global_inv scope:SCOPE_SE
	v_lshrrev_b32_e32 v10, 16, v14
	v_lshrrev_b32_e32 v27, 16, v16
	;; [unrolled: 1-line block ×10, first 2 shown]
	s_delay_alu instid0(VALU_DEP_3) | instskip(SKIP_1) | instid1(VALU_DEP_4)
	v_mul_f16_e32 v35, v30, v27
	v_mul_f16_e32 v36, v30, v16
	;; [unrolled: 1-line block ×12, first 2 shown]
	v_fmac_f16_e32 v35, v11, v16
	v_fma_f16 v16, v11, v27, -v36
	v_fmac_f16_e32 v37, v12, v18
	v_fma_f16 v18, v12, v28, -v38
	;; [unrolled: 2-line block ×6, first 2 shown]
	v_sub_f16_e32 v17, v14, v37
	v_sub_f16_e32 v18, v10, v18
	;; [unrolled: 1-line block ×8, first 2 shown]
	v_fma_f16 v14, v14, 2.0, -v17
	v_fma_f16 v10, v10, 2.0, -v18
	;; [unrolled: 1-line block ×8, first 2 shown]
	v_add_f16_e32 v20, v17, v20
	v_sub_f16_e32 v19, v18, v19
	v_sub_f16_e32 v27, v14, v27
	;; [unrolled: 1-line block ×3, first 2 shown]
	v_add_f16_e32 v13, v21, v13
	v_sub_f16_e32 v25, v12, v25
	v_sub_f16_e32 v28, v15, v28
	;; [unrolled: 1-line block ×3, first 2 shown]
	v_fma_f16 v17, v17, 2.0, -v20
	v_fma_f16 v18, v18, 2.0, -v19
	;; [unrolled: 1-line block ×6, first 2 shown]
	v_pack_b32_f16 v19, v20, v19
	v_fma_f16 v15, v15, 2.0, -v28
	v_fma_f16 v20, v26, 2.0, -v11
	v_pack_b32_f16 v16, v27, v16
	v_pack_b32_f16 v13, v13, v25
	;; [unrolled: 1-line block ×7, first 2 shown]
	ds_store_2addr_b32 v22, v16, v19 offset0:14 offset1:245
	ds_store_2addr_b32 v24, v11, v13 offset0:10 offset1:241
	ds_store_2addr_b32 v0, v10, v17 offset1:231
	ds_store_2addr_b32 v23, v14, v12 offset0:12 offset1:243
	global_wb scope:SCOPE_SE
	s_wait_dscnt 0x0
	s_barrier_signal -1
	s_barrier_wait -1
	global_inv scope:SCOPE_SE
	s_clause 0x3
	global_load_b32 v14, v[6:7], off offset:3684
	global_load_b32 v15, v[8:9], off offset:4608
	global_load_b32 v16, v[8:9], off offset:5532
	global_load_b32 v17, v[8:9], off offset:6456
	ds_load_2addr_b32 v[6:7], v23 offset0:12 offset1:243
	ds_load_2addr_b32 v[8:9], v24 offset0:10 offset1:241
	ds_load_2addr_b32 v[10:11], v0 offset1:231
	ds_load_2addr_b32 v[12:13], v22 offset0:14 offset1:245
	global_wb scope:SCOPE_SE
	s_wait_loadcnt_dscnt 0x0
	s_barrier_signal -1
	s_barrier_wait -1
	global_inv scope:SCOPE_SE
	v_pk_mul_f16 v18, v14, v6 op_sel:[0,1]
	v_pk_mul_f16 v19, v15, v7 op_sel:[0,1]
	;; [unrolled: 1-line block ×4, first 2 shown]
	s_delay_alu instid0(VALU_DEP_4)
	v_pk_fma_f16 v25, v14, v6, v18 op_sel:[0,0,1] op_sel_hi:[1,1,0]
	v_pk_fma_f16 v6, v14, v6, v18 op_sel:[0,0,1] op_sel_hi:[1,0,0] neg_lo:[1,0,0] neg_hi:[1,0,0]
	v_pk_fma_f16 v14, v15, v7, v19 op_sel:[0,0,1] op_sel_hi:[1,1,0]
	v_pk_fma_f16 v7, v15, v7, v19 op_sel:[0,0,1] op_sel_hi:[1,0,0] neg_lo:[1,0,0] neg_hi:[1,0,0]
	;; [unrolled: 2-line block ×4, first 2 shown]
	v_bfi_b32 v6, 0xffff, v25, v6
	v_bfi_b32 v7, 0xffff, v14, v7
	;; [unrolled: 1-line block ×3, first 2 shown]
	s_delay_alu instid0(VALU_DEP_4) | instskip(NEXT) | instid1(VALU_DEP_4)
	v_bfi_b32 v9, 0xffff, v16, v9
	v_pk_add_f16 v6, v10, v6 neg_lo:[0,1] neg_hi:[0,1]
	s_delay_alu instid0(VALU_DEP_4) | instskip(NEXT) | instid1(VALU_DEP_4)
	v_pk_add_f16 v7, v11, v7 neg_lo:[0,1] neg_hi:[0,1]
	v_pk_add_f16 v8, v12, v8 neg_lo:[0,1] neg_hi:[0,1]
	s_delay_alu instid0(VALU_DEP_4) | instskip(NEXT) | instid1(VALU_DEP_4)
	v_pk_add_f16 v9, v13, v9 neg_lo:[0,1] neg_hi:[0,1]
	v_pk_fma_f16 v10, v10, 2.0, v6 op_sel_hi:[1,0,1] neg_lo:[0,0,1] neg_hi:[0,0,1]
	s_delay_alu instid0(VALU_DEP_4) | instskip(NEXT) | instid1(VALU_DEP_4)
	v_pk_fma_f16 v11, v11, 2.0, v7 op_sel_hi:[1,0,1] neg_lo:[0,0,1] neg_hi:[0,0,1]
	v_pk_fma_f16 v12, v12, 2.0, v8 op_sel_hi:[1,0,1] neg_lo:[0,0,1] neg_hi:[0,0,1]
	s_delay_alu instid0(VALU_DEP_4)
	v_pk_fma_f16 v13, v13, 2.0, v9 op_sel_hi:[1,0,1] neg_lo:[0,0,1] neg_hi:[0,0,1]
	ds_store_2addr_b32 v23, v6, v7 offset0:12 offset1:243
	ds_store_2addr_b32 v24, v8, v9 offset0:10 offset1:241
	ds_store_2addr_b32 v0, v10, v11 offset1:231
	ds_store_2addr_b32 v22, v12, v13 offset0:14 offset1:245
	global_wb scope:SCOPE_SE
	s_wait_dscnt 0x0
	s_barrier_signal -1
	s_barrier_wait -1
	global_inv scope:SCOPE_SE
	s_and_saveexec_b32 s0, vcc_lo
	s_cbranch_execz .LBB0_31
; %bb.30:
	v_mul_lo_u32 v0, s3, v3
	v_mul_lo_u32 v7, s2, v4
	v_mad_co_u64_u32 v[3:4], null, s2, v3, 0
	v_mov_b32_e32 v6, 0
	v_lshl_add_u32 v23, v5, 2, 0
	v_add_nc_u32_e32 v17, 0x483, v5
	v_add_nc_u32_e32 v21, 0x56a, v5
	;; [unrolled: 1-line block ×3, first 2 shown]
	v_add3_u32 v4, v4, v7, v0
	v_add_nc_u32_e32 v7, 0x1ce, v5
	v_lshlrev_b64_e32 v[0:1], 2, v[1:2]
	v_lshlrev_b64_e32 v[13:14], 2, v[5:6]
	v_mov_b32_e32 v8, v6
	v_lshlrev_b64_e32 v[11:12], 2, v[3:4]
	v_dual_mov_b32 v3, v6 :: v_dual_add_nc_u32 v2, 0xe7, v5
	v_add_nc_u32_e32 v4, 0x700, v23
	v_mov_b32_e32 v16, v6
	ds_load_2addr_b32 v[9:10], v23 offset1:231
	v_add_co_u32 v11, vcc_lo, s6, v11
	s_wait_alu 0xfffd
	v_add_co_ci_u32_e32 v12, vcc_lo, s7, v12, vcc_lo
	v_lshlrev_b64_e32 v[2:3], 2, v[2:3]
	s_delay_alu instid0(VALU_DEP_3) | instskip(SKIP_1) | instid1(VALU_DEP_3)
	v_add_co_u32 v25, vcc_lo, v11, v0
	s_wait_alu 0xfffd
	v_add_co_ci_u32_e32 v26, vcc_lo, v12, v1, vcc_lo
	v_lshlrev_b64_e32 v[0:1], 2, v[7:8]
	s_delay_alu instid0(VALU_DEP_3) | instskip(SKIP_1) | instid1(VALU_DEP_3)
	v_add_co_u32 v7, vcc_lo, v25, v13
	s_wait_alu 0xfffd
	v_add_co_ci_u32_e32 v8, vcc_lo, v26, v14, vcc_lo
	v_dual_mov_b32 v14, v6 :: v_dual_add_nc_u32 v13, 0x2b5, v5
	ds_load_2addr_b32 v[11:12], v4 offset0:14 offset1:245
	v_add_nc_u32_e32 v4, 0xe40, v23
	v_add_co_u32 v2, vcc_lo, v25, v2
	v_lshlrev_b64_e32 v[13:14], 2, v[13:14]
	v_mov_b32_e32 v18, v6
	ds_load_2addr_b32 v[19:20], v4 offset0:12 offset1:243
	v_add_nc_u32_e32 v4, 0x1580, v23
	s_wait_alu 0xfffd
	v_add_co_ci_u32_e32 v3, vcc_lo, v26, v3, vcc_lo
	v_add_co_u32 v0, vcc_lo, v25, v0
	v_lshlrev_b64_e32 v[15:16], 2, v[15:16]
	v_dual_mov_b32 v22, v6 :: v_dual_add_nc_u32 v5, 0x651, v5
	s_wait_alu 0xfffd
	v_add_co_ci_u32_e32 v1, vcc_lo, v26, v1, vcc_lo
	v_add_co_u32 v13, vcc_lo, v25, v13
	v_lshlrev_b64_e32 v[17:18], 2, v[17:18]
	ds_load_2addr_b32 v[23:24], v4 offset0:10 offset1:241
	s_wait_alu 0xfffd
	v_add_co_ci_u32_e32 v14, vcc_lo, v26, v14, vcc_lo
	v_add_co_u32 v15, vcc_lo, v25, v15
	v_lshlrev_b64_e32 v[21:22], 2, v[21:22]
	s_wait_alu 0xfffd
	v_add_co_ci_u32_e32 v16, vcc_lo, v26, v16, vcc_lo
	v_add_co_u32 v17, vcc_lo, v25, v17
	v_lshlrev_b64_e32 v[4:5], 2, v[5:6]
	s_wait_alu 0xfffd
	v_add_co_ci_u32_e32 v18, vcc_lo, v26, v18, vcc_lo
	v_add_co_u32 v21, vcc_lo, v25, v21
	s_wait_alu 0xfffd
	v_add_co_ci_u32_e32 v22, vcc_lo, v26, v22, vcc_lo
	v_add_co_u32 v4, vcc_lo, v25, v4
	s_wait_alu 0xfffd
	v_add_co_ci_u32_e32 v5, vcc_lo, v26, v5, vcc_lo
	s_wait_dscnt 0x3
	s_clause 0x1
	global_store_b32 v[7:8], v9, off
	global_store_b32 v[2:3], v10, off
	s_wait_dscnt 0x2
	s_clause 0x1
	global_store_b32 v[0:1], v11, off
	global_store_b32 v[13:14], v12, off
	;; [unrolled: 4-line block ×4, first 2 shown]
.LBB0_31:
	s_nop 0
	s_sendmsg sendmsg(MSG_DEALLOC_VGPRS)
	s_endpgm
	.section	.rodata,"a",@progbits
	.p2align	6, 0x0
	.amdhsa_kernel fft_rtc_back_len1848_factors_3_11_7_4_2_wgs_231_tpt_231_halfLds_half_op_CI_CI_unitstride_sbrr_C2R_dirReg
		.amdhsa_group_segment_fixed_size 0
		.amdhsa_private_segment_fixed_size 0
		.amdhsa_kernarg_size 104
		.amdhsa_user_sgpr_count 2
		.amdhsa_user_sgpr_dispatch_ptr 0
		.amdhsa_user_sgpr_queue_ptr 0
		.amdhsa_user_sgpr_kernarg_segment_ptr 1
		.amdhsa_user_sgpr_dispatch_id 0
		.amdhsa_user_sgpr_private_segment_size 0
		.amdhsa_wavefront_size32 1
		.amdhsa_uses_dynamic_stack 0
		.amdhsa_enable_private_segment 0
		.amdhsa_system_sgpr_workgroup_id_x 1
		.amdhsa_system_sgpr_workgroup_id_y 0
		.amdhsa_system_sgpr_workgroup_id_z 0
		.amdhsa_system_sgpr_workgroup_info 0
		.amdhsa_system_vgpr_workitem_id 0
		.amdhsa_next_free_vgpr 123
		.amdhsa_next_free_sgpr 39
		.amdhsa_reserve_vcc 1
		.amdhsa_float_round_mode_32 0
		.amdhsa_float_round_mode_16_64 0
		.amdhsa_float_denorm_mode_32 3
		.amdhsa_float_denorm_mode_16_64 3
		.amdhsa_fp16_overflow 0
		.amdhsa_workgroup_processor_mode 1
		.amdhsa_memory_ordered 1
		.amdhsa_forward_progress 0
		.amdhsa_round_robin_scheduling 0
		.amdhsa_exception_fp_ieee_invalid_op 0
		.amdhsa_exception_fp_denorm_src 0
		.amdhsa_exception_fp_ieee_div_zero 0
		.amdhsa_exception_fp_ieee_overflow 0
		.amdhsa_exception_fp_ieee_underflow 0
		.amdhsa_exception_fp_ieee_inexact 0
		.amdhsa_exception_int_div_zero 0
	.end_amdhsa_kernel
	.text
.Lfunc_end0:
	.size	fft_rtc_back_len1848_factors_3_11_7_4_2_wgs_231_tpt_231_halfLds_half_op_CI_CI_unitstride_sbrr_C2R_dirReg, .Lfunc_end0-fft_rtc_back_len1848_factors_3_11_7_4_2_wgs_231_tpt_231_halfLds_half_op_CI_CI_unitstride_sbrr_C2R_dirReg
                                        ; -- End function
	.section	.AMDGPU.csdata,"",@progbits
; Kernel info:
; codeLenInByte = 9708
; NumSgprs: 41
; NumVgprs: 123
; ScratchSize: 0
; MemoryBound: 0
; FloatMode: 240
; IeeeMode: 1
; LDSByteSize: 0 bytes/workgroup (compile time only)
; SGPRBlocks: 5
; VGPRBlocks: 15
; NumSGPRsForWavesPerEU: 41
; NumVGPRsForWavesPerEU: 123
; Occupancy: 10
; WaveLimiterHint : 1
; COMPUTE_PGM_RSRC2:SCRATCH_EN: 0
; COMPUTE_PGM_RSRC2:USER_SGPR: 2
; COMPUTE_PGM_RSRC2:TRAP_HANDLER: 0
; COMPUTE_PGM_RSRC2:TGID_X_EN: 1
; COMPUTE_PGM_RSRC2:TGID_Y_EN: 0
; COMPUTE_PGM_RSRC2:TGID_Z_EN: 0
; COMPUTE_PGM_RSRC2:TIDIG_COMP_CNT: 0
	.text
	.p2alignl 7, 3214868480
	.fill 96, 4, 3214868480
	.type	__hip_cuid_8c38e09b85e91645,@object ; @__hip_cuid_8c38e09b85e91645
	.section	.bss,"aw",@nobits
	.globl	__hip_cuid_8c38e09b85e91645
__hip_cuid_8c38e09b85e91645:
	.byte	0                               ; 0x0
	.size	__hip_cuid_8c38e09b85e91645, 1

	.ident	"AMD clang version 19.0.0git (https://github.com/RadeonOpenCompute/llvm-project roc-6.4.0 25133 c7fe45cf4b819c5991fe208aaa96edf142730f1d)"
	.section	".note.GNU-stack","",@progbits
	.addrsig
	.addrsig_sym __hip_cuid_8c38e09b85e91645
	.amdgpu_metadata
---
amdhsa.kernels:
  - .args:
      - .actual_access:  read_only
        .address_space:  global
        .offset:         0
        .size:           8
        .value_kind:     global_buffer
      - .offset:         8
        .size:           8
        .value_kind:     by_value
      - .actual_access:  read_only
        .address_space:  global
        .offset:         16
        .size:           8
        .value_kind:     global_buffer
      - .actual_access:  read_only
        .address_space:  global
        .offset:         24
        .size:           8
        .value_kind:     global_buffer
      - .actual_access:  read_only
        .address_space:  global
        .offset:         32
        .size:           8
        .value_kind:     global_buffer
      - .offset:         40
        .size:           8
        .value_kind:     by_value
      - .actual_access:  read_only
        .address_space:  global
        .offset:         48
        .size:           8
        .value_kind:     global_buffer
      - .actual_access:  read_only
        .address_space:  global
        .offset:         56
        .size:           8
        .value_kind:     global_buffer
      - .offset:         64
        .size:           4
        .value_kind:     by_value
      - .actual_access:  read_only
        .address_space:  global
        .offset:         72
        .size:           8
        .value_kind:     global_buffer
      - .actual_access:  read_only
        .address_space:  global
        .offset:         80
        .size:           8
        .value_kind:     global_buffer
      - .actual_access:  read_only
        .address_space:  global
        .offset:         88
        .size:           8
        .value_kind:     global_buffer
      - .actual_access:  write_only
        .address_space:  global
        .offset:         96
        .size:           8
        .value_kind:     global_buffer
    .group_segment_fixed_size: 0
    .kernarg_segment_align: 8
    .kernarg_segment_size: 104
    .language:       OpenCL C
    .language_version:
      - 2
      - 0
    .max_flat_workgroup_size: 231
    .name:           fft_rtc_back_len1848_factors_3_11_7_4_2_wgs_231_tpt_231_halfLds_half_op_CI_CI_unitstride_sbrr_C2R_dirReg
    .private_segment_fixed_size: 0
    .sgpr_count:     41
    .sgpr_spill_count: 0
    .symbol:         fft_rtc_back_len1848_factors_3_11_7_4_2_wgs_231_tpt_231_halfLds_half_op_CI_CI_unitstride_sbrr_C2R_dirReg.kd
    .uniform_work_group_size: 1
    .uses_dynamic_stack: false
    .vgpr_count:     123
    .vgpr_spill_count: 0
    .wavefront_size: 32
    .workgroup_processor_mode: 1
amdhsa.target:   amdgcn-amd-amdhsa--gfx1201
amdhsa.version:
  - 1
  - 2
...

	.end_amdgpu_metadata
